;; amdgpu-corpus repo=ROCm/rocFFT kind=compiled arch=gfx1100 opt=O3
	.text
	.amdgcn_target "amdgcn-amd-amdhsa--gfx1100"
	.amdhsa_code_object_version 6
	.protected	fft_rtc_back_len84_factors_7_2_6_wgs_336_tpt_14_dp_ip_CI_sbcc_twdbase8_3step_dirReg ; -- Begin function fft_rtc_back_len84_factors_7_2_6_wgs_336_tpt_14_dp_ip_CI_sbcc_twdbase8_3step_dirReg
	.globl	fft_rtc_back_len84_factors_7_2_6_wgs_336_tpt_14_dp_ip_CI_sbcc_twdbase8_3step_dirReg
	.p2align	8
	.type	fft_rtc_back_len84_factors_7_2_6_wgs_336_tpt_14_dp_ip_CI_sbcc_twdbase8_3step_dirReg,@function
fft_rtc_back_len84_factors_7_2_6_wgs_336_tpt_14_dp_ip_CI_sbcc_twdbase8_3step_dirReg: ; @fft_rtc_back_len84_factors_7_2_6_wgs_336_tpt_14_dp_ip_CI_sbcc_twdbase8_3step_dirReg
; %bb.0:
	s_mov_b32 s20, s15
	s_load_b128 s[12:15], s[0:1], 0x18
	s_mov_b32 s21, 0
	s_mov_b64 s[24:25], 0
	s_waitcnt lgkmcnt(0)
	s_load_b64 s[18:19], s[12:13], 0x8
	s_waitcnt lgkmcnt(0)
	s_add_u32 s2, s18, -1
	s_addc_u32 s3, s19, -1
	s_add_u32 s4, 0, 0xaaaa0000
	s_addc_u32 s5, 0, 42
	s_mul_hi_u32 s7, s4, 0xffffffe8
	s_add_i32 s5, s5, 0xaaaaa80
	s_sub_i32 s7, s7, s4
	s_mul_i32 s9, s5, 0xffffffe8
	s_mul_i32 s6, s4, 0xffffffe8
	s_add_i32 s7, s7, s9
	s_mul_hi_u32 s8, s4, s6
	s_mul_i32 s11, s4, s7
	s_mul_hi_u32 s9, s4, s7
	s_mul_hi_u32 s10, s5, s6
	s_mul_i32 s6, s5, s6
	s_add_u32 s8, s8, s11
	s_addc_u32 s9, 0, s9
	s_mul_hi_u32 s16, s5, s7
	s_add_u32 s6, s8, s6
	s_mul_i32 s7, s5, s7
	s_addc_u32 s6, s9, s10
	s_addc_u32 s8, s16, 0
	s_add_u32 s6, s6, s7
	s_delay_alu instid0(SALU_CYCLE_1) | instskip(SKIP_3) | instid1(VALU_DEP_1)
	v_add_co_u32 v1, s4, s4, s6
	s_addc_u32 s6, 0, s8
	s_cmp_lg_u32 s4, 0
	s_addc_u32 s4, s5, s6
	v_readfirstlane_b32 s5, v1
	s_mul_i32 s7, s2, s4
	s_mul_hi_u32 s6, s2, s4
	s_mul_hi_u32 s8, s3, s4
	s_mul_i32 s4, s3, s4
	s_mul_hi_u32 s9, s2, s5
	s_mul_hi_u32 s10, s3, s5
	s_mul_i32 s5, s3, s5
	s_add_u32 s7, s9, s7
	s_addc_u32 s6, 0, s6
	s_add_u32 s5, s7, s5
	s_addc_u32 s5, s6, s10
	s_addc_u32 s6, s8, 0
	s_add_u32 s4, s5, s4
	s_addc_u32 s5, 0, s6
	s_mul_i32 s7, s4, 24
	s_add_u32 s6, s4, 1
	v_sub_co_u32 v1, s2, s2, s7
	s_mul_hi_u32 s7, s4, 24
	s_addc_u32 s8, s5, 0
	s_mul_i32 s9, s5, 24
	s_delay_alu instid0(VALU_DEP_1)
	v_sub_co_u32 v2, s10, v1, 24
	s_add_u32 s11, s4, 2
	s_addc_u32 s16, s5, 0
	s_add_i32 s7, s7, s9
	s_cmp_lg_u32 s2, 0
	v_readfirstlane_b32 s2, v2
	s_subb_u32 s3, s3, s7
	s_cmp_lg_u32 s10, 0
	s_subb_u32 s7, s3, 0
	s_delay_alu instid0(VALU_DEP_1) | instskip(SKIP_4) | instid1(SALU_CYCLE_1)
	s_cmp_gt_u32 s2, 23
	s_cselect_b32 s2, -1, 0
	s_cmp_eq_u32 s7, 0
	v_readfirstlane_b32 s7, v1
	s_cselect_b32 s2, s2, -1
	s_cmp_lg_u32 s2, 0
	s_cselect_b32 s2, s11, s6
	s_cselect_b32 s6, s16, s8
	s_cmp_gt_u32 s7, 23
	s_cselect_b32 s7, -1, 0
	s_cmp_eq_u32 s3, 0
	s_cselect_b32 s3, s7, -1
	s_delay_alu instid0(SALU_CYCLE_1) | instskip(SKIP_4) | instid1(SALU_CYCLE_1)
	s_cmp_lg_u32 s3, 0
	s_cselect_b32 s2, s2, s4
	s_cselect_b32 s3, s6, s5
	s_add_u32 s22, s2, 1
	s_addc_u32 s23, s3, 0
	v_cmp_lt_u64_e64 s2, s[20:21], s[22:23]
	s_delay_alu instid0(VALU_DEP_1)
	s_and_b32 vcc_lo, exec_lo, s2
	s_cbranch_vccnz .LBB0_2
; %bb.1:
	v_cvt_f32_u32_e32 v1, s22
	s_sub_i32 s3, 0, s22
	s_mov_b32 s25, s21
	s_delay_alu instid0(VALU_DEP_1) | instskip(SKIP_2) | instid1(VALU_DEP_1)
	v_rcp_iflag_f32_e32 v1, v1
	s_waitcnt_depctr 0xfff
	v_mul_f32_e32 v1, 0x4f7ffffe, v1
	v_cvt_u32_f32_e32 v1, v1
	s_delay_alu instid0(VALU_DEP_1) | instskip(NEXT) | instid1(VALU_DEP_1)
	v_readfirstlane_b32 s2, v1
	s_mul_i32 s3, s3, s2
	s_delay_alu instid0(SALU_CYCLE_1) | instskip(NEXT) | instid1(SALU_CYCLE_1)
	s_mul_hi_u32 s3, s2, s3
	s_add_i32 s2, s2, s3
	s_delay_alu instid0(SALU_CYCLE_1) | instskip(NEXT) | instid1(SALU_CYCLE_1)
	s_mul_hi_u32 s2, s20, s2
	s_mul_i32 s3, s2, s22
	s_add_i32 s4, s2, 1
	s_sub_i32 s3, s20, s3
	s_delay_alu instid0(SALU_CYCLE_1)
	s_sub_i32 s5, s3, s22
	s_cmp_ge_u32 s3, s22
	s_cselect_b32 s2, s4, s2
	s_cselect_b32 s3, s5, s3
	s_add_i32 s4, s2, 1
	s_cmp_ge_u32 s3, s22
	s_cselect_b32 s24, s4, s2
.LBB0_2:
	s_load_b128 s[4:7], s[14:15], 0x0
	s_clause 0x2
	s_load_b128 s[8:11], s[0:1], 0x8
	s_load_b64 s[16:17], s[0:1], 0x0
	s_load_b64 s[2:3], s[0:1], 0x58
	s_mul_i32 s0, s24, s23
	s_mul_hi_u32 s1, s24, s22
	s_mul_i32 s26, s24, s22
	s_add_i32 s1, s1, s0
	s_sub_u32 s36, s20, s26
	s_subb_u32 s0, 0, s1
	s_mul_hi_u32 s33, s36, 24
	s_mul_i32 s0, s0, 24
	s_mul_i32 s36, s36, 24
	s_add_i32 s33, s33, s0
	s_waitcnt lgkmcnt(0)
	s_mul_i32 s0, s6, s33
	v_cmp_lt_u64_e64 s26, s[10:11], 3
	s_mul_hi_u32 s1, s6, s36
	s_mul_i32 s38, s6, s36
	s_add_i32 s0, s1, s0
	s_mul_i32 s1, s7, s36
	s_delay_alu instid0(SALU_CYCLE_1)
	s_add_i32 s37, s0, s1
	s_and_b32 vcc_lo, exec_lo, s26
	s_cbranch_vccnz .LBB0_12
; %bb.3:
	s_add_u32 s0, s14, 16
	s_addc_u32 s1, s15, 0
	s_add_u32 s12, s12, 16
	s_addc_u32 s13, s13, 0
	s_mov_b64 s[26:27], 2
	s_mov_b32 s28, 0
.LBB0_4:                                ; =>This Inner Loop Header: Depth=1
	s_load_b64 s[30:31], s[12:13], 0x0
	s_waitcnt lgkmcnt(0)
	s_or_b64 s[34:35], s[24:25], s[30:31]
	s_delay_alu instid0(SALU_CYCLE_1) | instskip(NEXT) | instid1(SALU_CYCLE_1)
	s_mov_b32 s29, s35
                                        ; implicit-def: $sgpr34_sgpr35
	s_cmp_lg_u64 s[28:29], 0
	s_mov_b32 s29, -1
	s_cbranch_scc0 .LBB0_6
; %bb.5:                                ;   in Loop: Header=BB0_4 Depth=1
	v_cvt_f32_u32_e32 v1, s30
	v_cvt_f32_u32_e32 v2, s31
	s_sub_u32 s35, 0, s30
	s_subb_u32 s39, 0, s31
	s_delay_alu instid0(VALU_DEP_1) | instskip(NEXT) | instid1(VALU_DEP_1)
	v_fmac_f32_e32 v1, 0x4f800000, v2
	v_rcp_f32_e32 v1, v1
	s_waitcnt_depctr 0xfff
	v_mul_f32_e32 v1, 0x5f7ffffc, v1
	s_delay_alu instid0(VALU_DEP_1) | instskip(NEXT) | instid1(VALU_DEP_1)
	v_mul_f32_e32 v2, 0x2f800000, v1
	v_trunc_f32_e32 v2, v2
	s_delay_alu instid0(VALU_DEP_1) | instskip(SKIP_1) | instid1(VALU_DEP_2)
	v_fmac_f32_e32 v1, 0xcf800000, v2
	v_cvt_u32_f32_e32 v2, v2
	v_cvt_u32_f32_e32 v1, v1
	s_delay_alu instid0(VALU_DEP_2) | instskip(NEXT) | instid1(VALU_DEP_2)
	v_readfirstlane_b32 s29, v2
	v_readfirstlane_b32 s34, v1
	s_delay_alu instid0(VALU_DEP_2) | instskip(NEXT) | instid1(VALU_DEP_1)
	s_mul_i32 s40, s35, s29
	s_mul_hi_u32 s42, s35, s34
	s_mul_i32 s41, s39, s34
	s_add_i32 s40, s42, s40
	s_mul_i32 s43, s35, s34
	s_add_i32 s40, s40, s41
	s_mul_hi_u32 s42, s34, s43
	s_mul_hi_u32 s44, s29, s43
	s_mul_i32 s41, s29, s43
	s_mul_hi_u32 s43, s34, s40
	s_mul_i32 s34, s34, s40
	s_mul_hi_u32 s45, s29, s40
	s_add_u32 s34, s42, s34
	s_addc_u32 s42, 0, s43
	s_add_u32 s34, s34, s41
	s_mul_i32 s40, s29, s40
	s_addc_u32 s34, s42, s44
	s_addc_u32 s41, s45, 0
	s_add_u32 s34, s34, s40
	s_addc_u32 s40, 0, s41
	v_add_co_u32 v1, s34, v1, s34
	s_delay_alu instid0(VALU_DEP_1) | instskip(SKIP_1) | instid1(VALU_DEP_1)
	s_cmp_lg_u32 s34, 0
	s_addc_u32 s29, s29, s40
	v_readfirstlane_b32 s34, v1
	s_mul_i32 s40, s35, s29
	s_delay_alu instid0(VALU_DEP_1)
	s_mul_hi_u32 s41, s35, s34
	s_mul_i32 s39, s39, s34
	s_add_i32 s40, s41, s40
	s_mul_i32 s35, s35, s34
	s_add_i32 s40, s40, s39
	s_mul_hi_u32 s41, s29, s35
	s_mul_i32 s42, s29, s35
	s_mul_hi_u32 s35, s34, s35
	s_mul_hi_u32 s43, s34, s40
	s_mul_i32 s34, s34, s40
	s_mul_hi_u32 s39, s29, s40
	s_add_u32 s34, s35, s34
	s_addc_u32 s35, 0, s43
	s_add_u32 s34, s34, s42
	s_mul_i32 s40, s29, s40
	s_addc_u32 s34, s35, s41
	s_addc_u32 s35, s39, 0
	s_add_u32 s34, s34, s40
	s_addc_u32 s35, 0, s35
	v_add_co_u32 v1, s34, v1, s34
	s_delay_alu instid0(VALU_DEP_1) | instskip(SKIP_1) | instid1(VALU_DEP_1)
	s_cmp_lg_u32 s34, 0
	s_addc_u32 s29, s29, s35
	v_readfirstlane_b32 s34, v1
	s_mul_i32 s39, s24, s29
	s_mul_hi_u32 s35, s24, s29
	s_mul_hi_u32 s40, s25, s29
	s_mul_i32 s29, s25, s29
	s_mul_hi_u32 s41, s24, s34
	s_mul_hi_u32 s42, s25, s34
	s_mul_i32 s34, s25, s34
	s_add_u32 s39, s41, s39
	s_addc_u32 s35, 0, s35
	s_add_u32 s34, s39, s34
	s_addc_u32 s34, s35, s42
	s_addc_u32 s35, s40, 0
	s_add_u32 s34, s34, s29
	s_addc_u32 s35, 0, s35
	s_mul_hi_u32 s29, s30, s34
	s_mul_i32 s40, s30, s35
	s_mul_i32 s41, s30, s34
	s_add_i32 s29, s29, s40
	v_sub_co_u32 v1, s40, s24, s41
	s_mul_i32 s39, s31, s34
	s_delay_alu instid0(SALU_CYCLE_1) | instskip(NEXT) | instid1(VALU_DEP_1)
	s_add_i32 s29, s29, s39
	v_sub_co_u32 v2, s41, v1, s30
	s_sub_i32 s39, s25, s29
	s_cmp_lg_u32 s40, 0
	s_subb_u32 s39, s39, s31
	s_cmp_lg_u32 s41, 0
	v_readfirstlane_b32 s41, v2
	s_subb_u32 s39, s39, 0
	s_delay_alu instid0(SALU_CYCLE_1) | instskip(SKIP_1) | instid1(VALU_DEP_1)
	s_cmp_ge_u32 s39, s31
	s_cselect_b32 s42, -1, 0
	s_cmp_ge_u32 s41, s30
	s_cselect_b32 s41, -1, 0
	s_cmp_eq_u32 s39, s31
	s_cselect_b32 s39, s41, s42
	s_add_u32 s41, s34, 1
	s_addc_u32 s42, s35, 0
	s_add_u32 s43, s34, 2
	s_addc_u32 s44, s35, 0
	s_cmp_lg_u32 s39, 0
	s_cselect_b32 s39, s43, s41
	s_cselect_b32 s41, s44, s42
	s_cmp_lg_u32 s40, 0
	v_readfirstlane_b32 s40, v1
	s_subb_u32 s29, s25, s29
	s_delay_alu instid0(SALU_CYCLE_1) | instskip(SKIP_1) | instid1(VALU_DEP_1)
	s_cmp_ge_u32 s29, s31
	s_cselect_b32 s42, -1, 0
	s_cmp_ge_u32 s40, s30
	s_cselect_b32 s40, -1, 0
	s_cmp_eq_u32 s29, s31
	s_cselect_b32 s29, s40, s42
	s_delay_alu instid0(SALU_CYCLE_1)
	s_cmp_lg_u32 s29, 0
	s_mov_b32 s29, 0
	s_cselect_b32 s35, s41, s35
	s_cselect_b32 s34, s39, s34
.LBB0_6:                                ;   in Loop: Header=BB0_4 Depth=1
	s_and_not1_b32 vcc_lo, exec_lo, s29
	s_cbranch_vccnz .LBB0_8
; %bb.7:                                ;   in Loop: Header=BB0_4 Depth=1
	v_cvt_f32_u32_e32 v1, s30
	s_sub_i32 s34, 0, s30
	s_waitcnt_depctr 0xfff
	v_rcp_iflag_f32_e32 v1, v1
	s_waitcnt_depctr 0xfff
	v_mul_f32_e32 v1, 0x4f7ffffe, v1
	s_delay_alu instid0(VALU_DEP_1) | instskip(NEXT) | instid1(VALU_DEP_1)
	v_cvt_u32_f32_e32 v1, v1
	v_readfirstlane_b32 s29, v1
	s_delay_alu instid0(VALU_DEP_1) | instskip(NEXT) | instid1(SALU_CYCLE_1)
	s_mul_i32 s34, s34, s29
	s_mul_hi_u32 s34, s29, s34
	s_delay_alu instid0(SALU_CYCLE_1) | instskip(NEXT) | instid1(SALU_CYCLE_1)
	s_add_i32 s29, s29, s34
	s_mul_hi_u32 s29, s24, s29
	s_delay_alu instid0(SALU_CYCLE_1) | instskip(SKIP_2) | instid1(SALU_CYCLE_1)
	s_mul_i32 s34, s29, s30
	s_add_i32 s35, s29, 1
	s_sub_i32 s34, s24, s34
	s_sub_i32 s39, s34, s30
	s_cmp_ge_u32 s34, s30
	s_cselect_b32 s29, s35, s29
	s_cselect_b32 s34, s39, s34
	s_add_i32 s35, s29, 1
	s_cmp_ge_u32 s34, s30
	s_cselect_b32 s34, s35, s29
	s_mov_b32 s35, s28
.LBB0_8:                                ;   in Loop: Header=BB0_4 Depth=1
	s_load_b64 s[40:41], s[0:1], 0x0
	s_mul_i32 s23, s30, s23
	s_mul_hi_u32 s29, s30, s22
	s_mul_i32 s39, s31, s22
	s_mul_i32 s31, s34, s31
	s_mul_hi_u32 s42, s34, s30
	s_mul_i32 s43, s35, s30
	s_add_i32 s23, s29, s23
	s_add_i32 s29, s42, s31
	s_mul_i32 s44, s34, s30
	s_add_i32 s23, s23, s39
	s_add_i32 s29, s29, s43
	s_sub_u32 s24, s24, s44
	s_subb_u32 s25, s25, s29
	s_mul_i32 s22, s30, s22
	s_waitcnt lgkmcnt(0)
	s_mul_i32 s25, s40, s25
	s_mul_hi_u32 s29, s40, s24
	s_delay_alu instid0(SALU_CYCLE_1)
	s_add_i32 s25, s29, s25
	s_mul_i32 s29, s41, s24
	s_mul_i32 s24, s40, s24
	s_add_i32 s25, s25, s29
	s_add_u32 s38, s24, s38
	s_addc_u32 s37, s25, s37
	s_add_u32 s26, s26, 1
	s_addc_u32 s27, s27, 0
	s_add_u32 s0, s0, 8
	v_cmp_ge_u64_e64 s24, s[26:27], s[10:11]
	s_addc_u32 s1, s1, 0
	s_add_u32 s12, s12, 8
	s_addc_u32 s13, s13, 0
	s_delay_alu instid0(VALU_DEP_1)
	s_and_b32 vcc_lo, exec_lo, s24
	s_cbranch_vccnz .LBB0_10
; %bb.9:                                ;   in Loop: Header=BB0_4 Depth=1
	s_mov_b64 s[24:25], s[34:35]
	s_branch .LBB0_4
.LBB0_10:
	v_cmp_lt_u64_e64 s0, s[20:21], s[22:23]
	s_mov_b64 s[24:25], 0
	s_delay_alu instid0(VALU_DEP_1)
	s_and_b32 vcc_lo, exec_lo, s0
	s_cbranch_vccnz .LBB0_12
; %bb.11:
	v_cvt_f32_u32_e32 v1, s22
	s_sub_i32 s1, 0, s22
	s_delay_alu instid0(VALU_DEP_1) | instskip(SKIP_2) | instid1(VALU_DEP_1)
	v_rcp_iflag_f32_e32 v1, v1
	s_waitcnt_depctr 0xfff
	v_mul_f32_e32 v1, 0x4f7ffffe, v1
	v_cvt_u32_f32_e32 v1, v1
	s_delay_alu instid0(VALU_DEP_1) | instskip(NEXT) | instid1(VALU_DEP_1)
	v_readfirstlane_b32 s0, v1
	s_mul_i32 s1, s1, s0
	s_delay_alu instid0(SALU_CYCLE_1) | instskip(NEXT) | instid1(SALU_CYCLE_1)
	s_mul_hi_u32 s1, s0, s1
	s_add_i32 s0, s0, s1
	s_delay_alu instid0(SALU_CYCLE_1) | instskip(NEXT) | instid1(SALU_CYCLE_1)
	s_mul_hi_u32 s0, s20, s0
	s_mul_i32 s1, s0, s22
	s_add_i32 s12, s0, 1
	s_sub_i32 s1, s20, s1
	s_delay_alu instid0(SALU_CYCLE_1)
	s_sub_i32 s13, s1, s22
	s_cmp_ge_u32 s1, s22
	s_cselect_b32 s0, s12, s0
	s_cselect_b32 s1, s13, s1
	s_add_i32 s12, s0, 1
	s_cmp_ge_u32 s1, s22
	s_cselect_b32 s24, s12, s0
.LBB0_12:
	s_lshl_b64 s[0:1], s[10:11], 3
	v_mul_u32_u24_e32 v1, 0xaab, v0
	s_add_u32 s0, s14, s0
	s_addc_u32 s1, s15, s1
                                        ; implicit-def: $vgpr27_vgpr28
                                        ; implicit-def: $vgpr23_vgpr24
                                        ; implicit-def: $vgpr15_vgpr16
                                        ; implicit-def: $vgpr11_vgpr12
                                        ; implicit-def: $vgpr19_vgpr20
                                        ; implicit-def: $vgpr7_vgpr8
	s_load_b64 s[10:11], s[0:1], 0x0
	s_delay_alu instid0(VALU_DEP_1) | instskip(SKIP_1) | instid1(VALU_DEP_2)
	v_lshrrev_b32_e32 v32, 16, v1
	v_cmp_gt_u32_e64 s0, 0x120, v0
                                        ; kill: def $vgpr1_vgpr2 killed $sgpr0_sgpr1 killed $exec
	v_mul_lo_u16 v3, v32, 24
	v_add_nc_u32_e32 v38, 12, v32
	v_add_nc_u32_e32 v37, 24, v32
	;; [unrolled: 1-line block ×4, first 2 shown]
	v_sub_nc_u16 v1, v0, v3
	v_add_nc_u32_e32 v34, 60, v32
	v_add_nc_u32_e32 v33, 0x48, v32
                                        ; implicit-def: $vgpr3_vgpr4
	s_delay_alu instid0(VALU_DEP_3)
	v_and_b32_e32 v31, 0xffff, v1
	s_waitcnt lgkmcnt(0)
	s_mul_i32 s1, s11, s24
	s_mul_hi_u32 s11, s10, s24
	s_mul_i32 s10, s10, s24
	s_add_i32 s11, s11, s1
	s_add_u32 s10, s10, s38
	s_addc_u32 s11, s11, s37
	s_add_u32 s12, s36, 24
	s_addc_u32 s13, s33, 0
	s_delay_alu instid0(SALU_CYCLE_1) | instskip(NEXT) | instid1(VALU_DEP_1)
	v_cmp_le_u64_e64 s12, s[12:13], s[18:19]
	s_and_b32 s13, s0, s12
	s_delay_alu instid0(SALU_CYCLE_1)
	s_and_saveexec_b32 s1, s13
	s_cbranch_execz .LBB0_14
; %bb.13:
	v_mad_u64_u32 v[1:2], null, s6, v31, 0
	v_mad_u64_u32 v[3:4], null, s4, v32, 0
	v_mad_u64_u32 v[5:6], null, s4, v38, 0
	v_mad_u64_u32 v[9:10], null, s4, v37, 0
	s_lshl_b64 s[14:15], s[10:11], 4
	v_mad_u64_u32 v[15:16], null, s4, v34, 0
	s_delay_alu instid0(VALU_DEP_4) | instskip(NEXT) | instid1(VALU_DEP_4)
	v_mad_u64_u32 v[7:8], null, s7, v31, v[2:3]
	v_mad_u64_u32 v[11:12], null, s5, v32, v[4:5]
	s_add_u32 s13, s2, s14
	s_addc_u32 s14, s3, s15
	s_delay_alu instid0(VALU_DEP_2) | instskip(SKIP_1) | instid1(VALU_DEP_3)
	v_mad_u64_u32 v[12:13], null, s5, v38, v[6:7]
	v_dual_mov_b32 v2, v7 :: v_dual_mov_b32 v7, v10
	v_mov_b32_e32 v4, v11
	v_mad_u64_u32 v[13:14], null, s4, v36, 0
	s_delay_alu instid0(VALU_DEP_3)
	v_lshlrev_b64 v[1:2], 4, v[1:2]
	v_mov_b32_e32 v6, v12
	v_mad_u64_u32 v[10:11], null, s5, v37, v[7:8]
	v_lshlrev_b64 v[3:4], 4, v[3:4]
	v_mad_u64_u32 v[11:12], null, s4, v35, 0
	v_add_co_u32 v23, vcc_lo, s13, v1
	v_lshlrev_b64 v[5:6], 4, v[5:6]
	v_add_co_ci_u32_e32 v24, vcc_lo, s14, v2, vcc_lo
	s_delay_alu instid0(VALU_DEP_3) | instskip(SKIP_1) | instid1(VALU_DEP_3)
	v_add_co_u32 v1, vcc_lo, v23, v3
	v_mov_b32_e32 v3, v12
	v_add_co_ci_u32_e32 v2, vcc_lo, v24, v4, vcc_lo
	v_mov_b32_e32 v4, v14
	v_add_co_u32 v5, vcc_lo, v23, v5
	v_lshlrev_b64 v[9:10], 4, v[9:10]
	v_add_co_ci_u32_e32 v6, vcc_lo, v24, v6, vcc_lo
	s_delay_alu instid0(VALU_DEP_4) | instskip(NEXT) | instid1(VALU_DEP_4)
	v_mad_u64_u32 v[17:18], null, s5, v35, v[3:4]
	v_mad_u64_u32 v[18:19], null, s5, v36, v[4:5]
	;; [unrolled: 1-line block ×3, first 2 shown]
	v_add_co_u32 v9, vcc_lo, v23, v9
	s_delay_alu instid0(VALU_DEP_4)
	v_mov_b32_e32 v12, v17
	v_add_co_ci_u32_e32 v10, vcc_lo, v24, v10, vcc_lo
	v_mov_b32_e32 v14, v18
	v_mad_u64_u32 v[17:18], null, s5, v34, v[16:17]
	v_mov_b32_e32 v16, v20
	v_lshlrev_b64 v[11:12], 4, v[11:12]
	s_delay_alu instid0(VALU_DEP_4)
	v_lshlrev_b64 v[13:14], 4, v[13:14]
	s_clause 0x1
	global_load_b128 v[1:4], v[1:2], off
	global_load_b128 v[5:8], v[5:6], off
	v_mad_u64_u32 v[20:21], null, s5, v33, v[16:17]
	v_mov_b32_e32 v16, v17
	v_add_co_u32 v11, vcc_lo, v23, v11
	v_add_co_ci_u32_e32 v12, vcc_lo, v24, v12, vcc_lo
	s_delay_alu instid0(VALU_DEP_3) | instskip(SKIP_3) | instid1(VALU_DEP_4)
	v_lshlrev_b64 v[15:16], 4, v[15:16]
	v_add_co_u32 v13, vcc_lo, v23, v13
	v_lshlrev_b64 v[17:18], 4, v[19:20]
	v_add_co_ci_u32_e32 v14, vcc_lo, v24, v14, vcc_lo
	v_add_co_u32 v21, vcc_lo, v23, v15
	v_add_co_ci_u32_e32 v22, vcc_lo, v24, v16, vcc_lo
	s_delay_alu instid0(VALU_DEP_4)
	v_add_co_u32 v25, vcc_lo, v23, v17
	v_add_co_ci_u32_e32 v26, vcc_lo, v24, v18, vcc_lo
	s_clause 0x4
	global_load_b128 v[17:20], v[9:10], off
	global_load_b128 v[9:12], v[11:12], off
	;; [unrolled: 1-line block ×5, first 2 shown]
.LBB0_14:
	s_or_b32 exec_lo, exec_lo, s1
	v_add_co_u32 v29, s1, s36, v31
	s_delay_alu instid0(VALU_DEP_1) | instskip(SKIP_1) | instid1(VALU_DEP_1)
	v_add_co_ci_u32_e64 v30, null, s33, 0, s1
	s_xor_b32 s1, s12, -1
	v_cmp_gt_u64_e32 vcc_lo, s[18:19], v[29:30]
	s_and_b32 s13, s0, vcc_lo
	s_delay_alu instid0(SALU_CYCLE_1) | instskip(NEXT) | instid1(SALU_CYCLE_1)
	s_and_b32 s1, s1, s13
	s_and_saveexec_b32 s13, s1
	s_cbranch_execz .LBB0_16
; %bb.15:
	s_waitcnt vmcnt(6)
	v_mad_u64_u32 v[1:2], null, s6, v31, 0
	v_mad_u64_u32 v[3:4], null, s4, v32, 0
	s_waitcnt vmcnt(5)
	v_mad_u64_u32 v[5:6], null, s4, v38, 0
	s_waitcnt vmcnt(3)
	v_mad_u64_u32 v[9:10], null, s4, v37, 0
	s_lshl_b64 s[14:15], s[10:11], 4
	s_waitcnt vmcnt(2)
	v_mad_u64_u32 v[15:16], null, s4, v34, 0
	v_mad_u64_u32 v[7:8], null, s7, v31, v[2:3]
	s_delay_alu instid0(VALU_DEP_4) | instskip(SKIP_2) | instid1(VALU_DEP_2)
	v_mad_u64_u32 v[11:12], null, s5, v32, v[4:5]
	s_add_u32 s1, s2, s14
	s_addc_u32 s14, s3, s15
	v_mad_u64_u32 v[12:13], null, s5, v38, v[6:7]
	v_dual_mov_b32 v2, v7 :: v_dual_mov_b32 v7, v10
	s_delay_alu instid0(VALU_DEP_3) | instskip(SKIP_1) | instid1(VALU_DEP_3)
	v_mov_b32_e32 v4, v11
	v_mad_u64_u32 v[13:14], null, s4, v36, 0
	v_lshlrev_b64 v[1:2], 4, v[1:2]
	v_mov_b32_e32 v6, v12
	v_mad_u64_u32 v[10:11], null, s5, v37, v[7:8]
	v_lshlrev_b64 v[3:4], 4, v[3:4]
	v_mad_u64_u32 v[11:12], null, s4, v35, 0
	s_waitcnt vmcnt(1)
	v_add_co_u32 v23, s1, s1, v1
	v_lshlrev_b64 v[5:6], 4, v[5:6]
	v_add_co_ci_u32_e64 v24, s1, s14, v2, s1
	s_delay_alu instid0(VALU_DEP_3) | instskip(SKIP_1) | instid1(VALU_DEP_3)
	v_add_co_u32 v1, s1, v23, v3
	v_mov_b32_e32 v3, v12
	v_add_co_ci_u32_e64 v2, s1, v24, v4, s1
	v_mov_b32_e32 v4, v14
	v_add_co_u32 v5, s1, v23, v5
	v_lshlrev_b64 v[9:10], 4, v[9:10]
	v_add_co_ci_u32_e64 v6, s1, v24, v6, s1
	s_delay_alu instid0(VALU_DEP_4) | instskip(NEXT) | instid1(VALU_DEP_4)
	v_mad_u64_u32 v[17:18], null, s5, v35, v[3:4]
	v_mad_u64_u32 v[18:19], null, s5, v36, v[4:5]
	;; [unrolled: 1-line block ×3, first 2 shown]
	v_add_co_u32 v9, s1, v23, v9
	s_delay_alu instid0(VALU_DEP_4)
	v_mov_b32_e32 v12, v17
	v_add_co_ci_u32_e64 v10, s1, v24, v10, s1
	v_mov_b32_e32 v14, v18
	v_mad_u64_u32 v[17:18], null, s5, v34, v[16:17]
	v_mov_b32_e32 v16, v20
	v_lshlrev_b64 v[11:12], 4, v[11:12]
	s_delay_alu instid0(VALU_DEP_4)
	v_lshlrev_b64 v[13:14], 4, v[13:14]
	s_clause 0x1
	global_load_b128 v[1:4], v[1:2], off
	global_load_b128 v[5:8], v[5:6], off
	v_mad_u64_u32 v[20:21], null, s5, v33, v[16:17]
	v_mov_b32_e32 v16, v17
	v_add_co_u32 v11, s1, v23, v11
	s_delay_alu instid0(VALU_DEP_1) | instskip(NEXT) | instid1(VALU_DEP_3)
	v_add_co_ci_u32_e64 v12, s1, v24, v12, s1
	v_lshlrev_b64 v[15:16], 4, v[15:16]
	v_add_co_u32 v13, s1, v23, v13
	v_lshlrev_b64 v[17:18], 4, v[19:20]
	v_add_co_ci_u32_e64 v14, s1, v24, v14, s1
	s_delay_alu instid0(VALU_DEP_4) | instskip(NEXT) | instid1(VALU_DEP_1)
	v_add_co_u32 v21, s1, v23, v15
	v_add_co_ci_u32_e64 v22, s1, v24, v16, s1
	s_waitcnt vmcnt(2)
	s_delay_alu instid0(VALU_DEP_4) | instskip(NEXT) | instid1(VALU_DEP_1)
	v_add_co_u32 v25, s1, v23, v17
	v_add_co_ci_u32_e64 v26, s1, v24, v18, s1
	s_clause 0x4
	global_load_b128 v[17:20], v[9:10], off
	global_load_b128 v[9:12], v[11:12], off
	;; [unrolled: 1-line block ×5, first 2 shown]
.LBB0_16:
	s_or_b32 exec_lo, exec_lo, s13
	v_lshlrev_b32_e32 v30, 4, v31
	s_and_saveexec_b32 s1, s0
	s_cbranch_execz .LBB0_18
; %bb.17:
	s_waitcnt vmcnt(0)
	v_add_f64 v[33:34], v[27:28], v[7:8]
	v_add_f64 v[35:36], v[23:24], v[19:20]
	;; [unrolled: 1-line block ×4, first 2 shown]
	v_add_f64 v[41:42], v[13:14], -v[9:10]
	v_add_f64 v[17:18], v[17:18], -v[21:22]
	v_add_f64 v[21:22], v[15:16], v[11:12]
	v_add_f64 v[11:12], v[15:16], -v[11:12]
	v_add_f64 v[15:16], v[19:20], -v[23:24]
	v_add_f64 v[9:10], v[13:14], v[9:10]
	v_add_f64 v[5:6], v[5:6], -v[25:26]
	v_add_f64 v[7:8], v[7:8], -v[27:28]
	s_mov_b32 s14, 0xe976ee23
	s_mov_b32 s15, 0x3fe11646
	s_mov_b32 s18, 0x37e14327
	s_mov_b32 s19, 0x3fe948f6
	s_mov_b32 s20, 0x429ad128
	s_mov_b32 s21, 0xbfebfeb5
	s_mov_b32 s25, 0xbfe77f67
	s_mov_b32 s24, 0x5476071b
	s_mov_b32 s22, 0xaaaaaaaa
	s_mov_b32 s23, 0xbff2aaaa
	v_add_f64 v[13:14], v[35:36], v[33:34]
	v_add_f64 v[19:20], v[39:40], v[37:38]
	v_add_f64 v[23:24], v[41:42], -v[17:18]
	v_add_f64 v[25:26], v[33:34], -v[21:22]
	;; [unrolled: 1-line block ×8, first 2 shown]
	v_add_f64 v[17:18], v[41:42], v[17:18]
	v_add_f64 v[41:42], v[7:8], -v[11:12]
	v_add_f64 v[11:12], v[11:12], v[15:16]
	v_add_f64 v[13:14], v[21:22], v[13:14]
	v_add_f64 v[21:22], v[21:22], -v[35:36]
	v_add_f64 v[19:20], v[9:10], v[19:20]
	v_add_f64 v[9:10], v[9:10], -v[39:40]
	v_mul_f64 v[23:24], v[23:24], s[14:15]
	v_mul_f64 v[25:26], v[25:26], s[18:19]
	v_add_f64 v[35:36], v[39:40], -v[37:38]
	v_mul_f64 v[27:28], v[27:28], s[14:15]
	s_mov_b32 s14, 0x36b3c0b5
	v_mul_f64 v[37:38], v[43:44], s[18:19]
	s_mov_b32 s15, 0x3fac98ee
	v_mul_f64 v[39:40], v[45:46], s[20:21]
	v_mul_f64 v[43:44], v[47:48], s[20:21]
	s_mov_b32 s19, 0xbfd5d0dc
	s_mov_b32 s18, 0xb247c609
	v_add_f64 v[5:6], v[17:18], v[5:6]
	v_add_f64 v[7:8], v[11:12], v[7:8]
	;; [unrolled: 1-line block ×3, first 2 shown]
	v_mul_f64 v[15:16], v[21:22], s[14:15]
	v_add_f64 v[1:2], v[1:2], v[19:20]
	v_mul_f64 v[51:52], v[9:10], s[14:15]
	v_fma_f64 v[17:18], v[49:50], s[18:19], v[23:24]
	v_fma_f64 v[21:22], v[21:22], s[14:15], v[25:26]
	v_fma_f64 v[25:26], v[33:34], s[24:25], -v[25:26]
	v_fma_f64 v[53:54], v[41:42], s[18:19], v[27:28]
	s_mov_b32 s19, 0x3fd5d0dc
	v_fma_f64 v[55:56], v[35:36], s[24:25], -v[37:38]
	s_mov_b32 s25, 0x3fe77f67
	v_fma_f64 v[23:24], v[45:46], s[20:21], -v[23:24]
	v_fma_f64 v[39:40], v[49:50], s[18:19], -v[39:40]
	v_fma_f64 v[9:10], v[9:10], s[14:15], v[37:38]
	s_mov_b32 s14, 0x37c3f68c
	s_mov_b32 s15, 0xbfdc38aa
	v_fma_f64 v[13:14], v[13:14], s[22:23], v[3:4]
	v_fma_f64 v[11:12], v[33:34], s[24:25], -v[15:16]
	v_fma_f64 v[19:20], v[19:20], s[22:23], v[1:2]
	v_fma_f64 v[15:16], v[47:48], s[20:21], -v[27:28]
	v_fma_f64 v[27:28], v[41:42], s[18:19], -v[43:44]
	;; [unrolled: 1-line block ×3, first 2 shown]
	v_fma_f64 v[17:18], v[5:6], s[14:15], v[17:18]
	v_fma_f64 v[35:36], v[7:8], s[14:15], v[53:54]
	;; [unrolled: 1-line block ×4, first 2 shown]
	v_add_f64 v[21:22], v[21:22], v[13:14]
	v_add_f64 v[25:26], v[25:26], v[13:14]
	;; [unrolled: 1-line block ×4, first 2 shown]
	v_fma_f64 v[39:40], v[7:8], s[14:15], v[27:28]
	v_add_f64 v[9:10], v[55:56], v[19:20]
	v_fma_f64 v[37:38], v[7:8], s[14:15], v[15:16]
	v_add_f64 v[33:34], v[33:34], v[19:20]
	v_add_f64 v[27:28], v[21:22], -v[17:18]
	v_add_f64 v[11:12], v[5:6], v[25:26]
	v_add_f64 v[15:16], v[13:14], -v[23:24]
	;; [unrolled: 2-line block ×3, first 2 shown]
	v_add_f64 v[25:26], v[35:36], v[41:42]
	v_add_f64 v[7:8], v[17:18], v[21:22]
	;; [unrolled: 1-line block ×3, first 2 shown]
	v_add_f64 v[17:18], v[33:34], -v[37:38]
	v_add_f64 v[13:14], v[37:38], v[33:34]
	v_add_f64 v[9:10], v[9:10], -v[39:40]
	v_add_f64 v[5:6], v[41:42], -v[35:36]
	v_mul_u32_u24_e32 v33, 0xa80, v32
	s_delay_alu instid0(VALU_DEP_1)
	v_add3_u32 v33, 0, v33, v30
	ds_store_b128 v33, v[1:4]
	ds_store_b128 v33, v[25:28] offset:384
	ds_store_b128 v33, v[21:24] offset:768
	;; [unrolled: 1-line block ×6, first 2 shown]
.LBB0_18:
	s_or_b32 exec_lo, exec_lo, s1
	s_waitcnt vmcnt(6)
	v_mad_u16 v2, v32, 37, 0x206
	v_mad_u16 v3, v32, 37, 0x40c
	v_mul_lo_u16 v1, v32, 37
	s_waitcnt vmcnt(0) lgkmcnt(0)
	s_barrier
	v_lshrrev_b16 v41, 8, v2
	v_lshrrev_b16 v42, 8, v3
	;; [unrolled: 1-line block ×3, first 2 shown]
	buffer_gl0_inv
	s_or_b32 s0, s12, vcc_lo
	v_mul_lo_u16 v2, v41, 7
	v_mul_lo_u16 v3, v42, 7
	v_mul_lo_u16 v4, v43, 7
	s_delay_alu instid0(VALU_DEP_3) | instskip(NEXT) | instid1(VALU_DEP_3)
	v_sub_nc_u16 v2, v32, v2
	v_sub_nc_u16 v3, v32, v3
	s_delay_alu instid0(VALU_DEP_3) | instskip(NEXT) | instid1(VALU_DEP_3)
	v_sub_nc_u16 v44, v32, v4
	v_add_nc_u16 v2, v2, 14
	s_delay_alu instid0(VALU_DEP_3) | instskip(NEXT) | instid1(VALU_DEP_3)
	v_add_nc_u16 v3, v3, 28
	v_and_b32_e32 v4, 0xff, v44
	s_delay_alu instid0(VALU_DEP_3) | instskip(NEXT) | instid1(VALU_DEP_3)
	v_and_b32_e32 v45, 0xff, v2
	v_and_b32_e32 v46, 0xff, v3
	s_delay_alu instid0(VALU_DEP_3) | instskip(NEXT) | instid1(VALU_DEP_3)
	v_lshlrev_b32_e32 v2, 4, v4
	v_lshlrev_b32_e32 v7, 4, v45
	s_delay_alu instid0(VALU_DEP_3)
	v_lshlrev_b32_e32 v11, 4, v46
	s_clause 0x2
	global_load_b128 v[3:6], v2, s[16:17]
	global_load_b128 v[7:10], v7, s[16:17]
	;; [unrolled: 1-line block ×3, first 2 shown]
	v_mul_u32_u24_e32 v2, 0x180, v32
	s_delay_alu instid0(VALU_DEP_1)
	v_add3_u32 v2, 0, v2, v30
	ds_load_b128 v[15:18], v2 offset:16128
	ds_load_b128 v[19:22], v2 offset:21504
	;; [unrolled: 1-line block ×4, first 2 shown]
	s_waitcnt vmcnt(2) lgkmcnt(3)
	v_mul_f64 v[27:28], v[17:18], v[5:6]
	v_mul_f64 v[5:6], v[15:16], v[5:6]
	s_waitcnt vmcnt(1) lgkmcnt(2)
	v_mul_f64 v[37:38], v[21:22], v[9:10]
	v_mul_f64 v[9:10], v[19:20], v[9:10]
	;; [unrolled: 3-line block ×3, first 2 shown]
	v_fma_f64 v[15:16], v[15:16], v[3:4], v[27:28]
	v_fma_f64 v[17:18], v[17:18], v[3:4], -v[5:6]
	v_fma_f64 v[19:20], v[19:20], v[7:8], v[37:38]
	v_fma_f64 v[21:22], v[21:22], v[7:8], -v[9:10]
	;; [unrolled: 2-line block ×3, first 2 shown]
	ds_load_b128 v[3:6], v2
	ds_load_b128 v[7:10], v2 offset:5376
	v_mad_u16 v27, v43, 14, v44
	v_and_b32_e32 v28, 0xffff, v41
	s_waitcnt lgkmcnt(0)
	s_barrier
	buffer_gl0_inv
	v_and_b32_e32 v27, 0xff, v27
	v_mad_u32_u24 v28, v28, 14, v45
	s_delay_alu instid0(VALU_DEP_2) | instskip(NEXT) | instid1(VALU_DEP_2)
	v_mul_u32_u24_e32 v27, 0x180, v27
	v_mul_u32_u24_e32 v28, 0x180, v28
	s_delay_alu instid0(VALU_DEP_2) | instskip(NEXT) | instid1(VALU_DEP_2)
	v_add3_u32 v27, 0, v27, v30
	v_add3_u32 v28, 0, v28, v30
	v_add_f64 v[11:12], v[3:4], -v[15:16]
	v_add_f64 v[13:14], v[5:6], -v[17:18]
	;; [unrolled: 1-line block ×6, first 2 shown]
	v_fma_f64 v[3:4], v[3:4], 2.0, -v[11:12]
	v_fma_f64 v[5:6], v[5:6], 2.0, -v[13:14]
	;; [unrolled: 1-line block ×6, first 2 shown]
	v_and_b32_e32 v33, 0xffff, v42
	s_delay_alu instid0(VALU_DEP_1) | instskip(NEXT) | instid1(VALU_DEP_1)
	v_mad_u32_u24 v33, v33, 14, v46
	v_mul_u32_u24_e32 v33, 0x180, v33
	s_delay_alu instid0(VALU_DEP_1)
	v_add3_u32 v30, 0, v33, v30
	ds_store_b128 v27, v[3:6]
	ds_store_b128 v27, v[11:14] offset:2688
	ds_store_b128 v28, v[7:10]
	ds_store_b128 v28, v[15:18] offset:2688
	;; [unrolled: 2-line block ×3, first 2 shown]
	s_waitcnt lgkmcnt(0)
	s_barrier
	buffer_gl0_inv
	s_and_saveexec_b32 s1, s0
	s_cbranch_execz .LBB0_20
; %bb.19:
	v_lshrrev_b16 v1, 9, v1
	s_movk_i32 s0, 0x1000
	v_and_b32_e32 v0, 0xffff, v0
	s_delay_alu instid0(VALU_DEP_2) | instskip(NEXT) | instid1(VALU_DEP_1)
	v_mul_lo_u16 v1, v1, 14
	v_sub_nc_u16 v1, v32, v1
	s_delay_alu instid0(VALU_DEP_1) | instskip(NEXT) | instid1(VALU_DEP_1)
	v_and_b32_e32 v1, 0xff, v1
	v_mul_u32_u24_e32 v3, 5, v1
	v_add_nc_u32_e32 v23, 0x46, v1
	v_mul_lo_u32 v86, v29, v1
	v_add_nc_u32_e32 v72, 28, v1
	s_delay_alu instid0(VALU_DEP_4) | instskip(NEXT) | instid1(VALU_DEP_4)
	v_lshlrev_b32_e32 v19, 4, v3
	v_mul_lo_u32 v87, v29, v23
	s_clause 0x4
	global_load_b128 v[3:6], v19, s[16:17] offset:128
	global_load_b128 v[7:10], v19, s[16:17] offset:160
	;; [unrolled: 1-line block ×5, first 2 shown]
	v_and_b32_e32 v23, 0xff, v86
	v_lshrrev_b32_e32 v24, 4, v86
	v_mul_lo_u32 v89, v29, v72
	v_and_b32_e32 v25, 0xff, v87
	v_lshrrev_b32_e32 v28, 4, v87
	v_lshlrev_b32_e32 v23, 4, v23
	v_and_or_b32 v27, 0xff0, v24, s0
	s_delay_alu instid0(VALU_DEP_4)
	v_lshlrev_b32_e32 v30, 4, v25
	s_clause 0x1
	global_load_b128 v[23:26], v23, s[8:9]
	global_load_b128 v[32:35], v27, s[8:9]
	v_and_or_b32 v27, 0xff0, v28, s0
	s_clause 0x1
	global_load_b128 v[36:39], v30, s[8:9]
	global_load_b128 v[40:43], v27, s[8:9]
	v_add_nc_u32_e32 v27, 56, v1
	v_and_b32_e32 v76, 0xff, v89
	v_lshrrev_b32_e32 v77, 4, v89
	s_delay_alu instid0(VALU_DEP_3) | instskip(NEXT) | instid1(VALU_DEP_3)
	v_mul_lo_u32 v30, v29, v27
	v_lshlrev_b32_e32 v76, 4, v76
	s_delay_alu instid0(VALU_DEP_3) | instskip(NEXT) | instid1(VALU_DEP_3)
	v_and_or_b32 v77, 0xff0, v77, s0
	v_and_b32_e32 v27, 0xff, v30
	v_lshrrev_b32_e32 v28, 4, v30
	s_delay_alu instid0(VALU_DEP_2) | instskip(NEXT) | instid1(VALU_DEP_2)
	v_lshlrev_b32_e32 v27, 4, v27
	v_and_or_b32 v28, 0xff0, v28, s0
	s_clause 0x1
	global_load_b128 v[44:47], v27, s[8:9]
	global_load_b128 v[48:51], v28, s[8:9]
	v_add_nc_u32_e32 v27, 0x2a00, v2
	v_add_nc_u32_e32 v28, 42, v1
	ds_load_b128 v[52:55], v27
	v_mul_lo_u32 v88, v29, v28
	v_add_nc_u32_e32 v27, 0x1500, v2
	ds_load_b128 v[56:59], v27
	v_and_b32_e32 v28, 0xff, v88
	v_lshrrev_b32_e32 v60, 4, v88
	s_delay_alu instid0(VALU_DEP_2) | instskip(NEXT) | instid1(VALU_DEP_2)
	v_lshlrev_b32_e32 v61, 4, v28
	v_and_or_b32 v64, 0xff0, v60, s0
	s_clause 0x1
	global_load_b128 v[60:63], v61, s[8:9]
	global_load_b128 v[64:67], v64, s[8:9]
	ds_load_b128 v[68:71], v2 offset:21504
	ds_load_b128 v[72:75], v2 offset:26880
	s_waitcnt vmcnt(12) lgkmcnt(3)
	v_mul_f64 v[27:28], v[52:53], v[5:6]
	v_mul_f64 v[5:6], v[54:55], v[5:6]
	s_waitcnt vmcnt(11) lgkmcnt(1)
	v_mul_f64 v[80:81], v[68:69], v[9:10]
	v_mul_f64 v[9:10], v[70:71], v[9:10]
	s_delay_alu instid0(VALU_DEP_4) | instskip(NEXT) | instid1(VALU_DEP_4)
	v_fma_f64 v[82:83], v[54:55], v[3:4], -v[27:28]
	v_fma_f64 v[84:85], v[52:53], v[3:4], v[5:6]
	s_clause 0x1
	global_load_b128 v[3:6], v76, s[8:9]
	global_load_b128 v[52:55], v77, s[8:9]
	ds_load_b128 v[76:79], v2 offset:16128
	v_fma_f64 v[70:71], v[70:71], v[7:8], -v[80:81]
	v_fma_f64 v[68:69], v[68:69], v[7:8], v[9:10]
	v_add_nc_u32_e32 v27, 14, v1
	s_waitcnt vmcnt(6)
	v_mul_f64 v[80:81], v[38:39], v[42:43]
	v_mul_f64 v[42:43], v[36:37], v[42:43]
	s_delay_alu instid0(VALU_DEP_3) | instskip(NEXT) | instid1(VALU_DEP_1)
	v_mul_lo_u32 v90, v29, v27
	v_and_b32_e32 v27, 0xff, v90
	v_lshrrev_b32_e32 v28, 4, v90
	v_lshrrev_b32_e32 v90, 12, v90
	s_waitcnt lgkmcnt(0)
	v_mul_f64 v[7:8], v[76:77], v[13:14]
	v_mul_f64 v[9:10], v[78:79], v[13:14]
	;; [unrolled: 1-line block ×4, first 2 shown]
	v_lshlrev_b32_e32 v27, 4, v27
	v_and_or_b32 v29, 0xff0, v28, s0
	s_movk_i32 s0, 0xff0
	v_fma_f64 v[80:81], v[36:37], v[40:41], -v[80:81]
	v_and_or_b32 v36, v90, s0, 0x2000
	v_fma_f64 v[40:41], v[38:39], v[40:41], v[42:43]
	s_waitcnt vmcnt(4)
	v_mul_f64 v[42:43], v[46:47], v[50:51]
	v_mul_f64 v[50:51], v[44:45], v[50:51]
	global_load_b128 v[36:39], v36, s[8:9]
	v_fma_f64 v[78:79], v[78:79], v[11:12], -v[7:8]
	v_fma_f64 v[76:77], v[76:77], v[11:12], v[9:10]
	global_load_b128 v[7:10], v27, s[8:9]
	v_fma_f64 v[74:75], v[74:75], v[15:16], -v[13:14]
	global_load_b128 v[11:14], v29, s[8:9]
	v_mul_f64 v[27:28], v[58:59], v[21:22]
	v_mul_f64 v[21:22], v[56:57], v[21:22]
	v_fma_f64 v[72:73], v[72:73], v[15:16], v[17:18]
	v_lshrrev_b32_e32 v15, 12, v30
	v_mul_f64 v[29:30], v[25:26], v[34:35]
	v_mul_f64 v[34:35], v[23:24], v[34:35]
	s_delay_alu instid0(VALU_DEP_3)
	v_and_or_b32 v15, v15, s0, 0x2000
	global_load_b128 v[15:18], v15, s[8:9]
	v_fma_f64 v[42:43], v[44:45], v[48:49], -v[42:43]
	v_fma_f64 v[44:45], v[46:47], v[48:49], v[50:51]
	s_waitcnt vmcnt(6)
	v_mul_f64 v[46:47], v[62:63], v[66:67]
	v_mul_f64 v[48:49], v[60:61], v[66:67]
	v_fma_f64 v[56:57], v[56:57], v[19:20], v[27:28]
	v_fma_f64 v[58:59], v[58:59], v[19:20], -v[21:22]
	v_lshrrev_b32_e32 v19, 12, v86
	v_lshrrev_b32_e32 v20, 12, v87
	;; [unrolled: 1-line block ×4, first 2 shown]
	v_fma_f64 v[86:87], v[23:24], v[32:33], -v[29:30]
	v_and_or_b32 v19, v19, s0, 0x2000
	v_and_or_b32 v28, v20, s0, 0x2000
	;; [unrolled: 1-line block ×3, first 2 shown]
	v_fma_f64 v[88:89], v[25:26], v[32:33], v[34:35]
	v_and_or_b32 v32, v27, s0, 0x2000
	s_clause 0x1
	global_load_b128 v[19:22], v19, s[8:9]
	global_load_b128 v[23:26], v28, s[8:9]
	v_add_f64 v[66:67], v[76:77], -v[72:73]
	s_mov_b32 s0, 0xe8584caa
	s_clause 0x1
	global_load_b128 v[32:35], v32, s[8:9]
	global_load_b128 v[27:30], v91, s[8:9]
	s_mov_b32 s1, 0xbfebb67a
	s_mov_b32 s9, 0x3febb67a
	;; [unrolled: 1-line block ×3, first 2 shown]
	v_fma_f64 v[46:47], v[60:61], v[64:65], -v[46:47]
	v_add_f64 v[60:61], v[78:79], v[74:75]
	v_fma_f64 v[48:49], v[62:63], v[64:65], v[48:49]
	v_add_f64 v[62:63], v[82:83], v[70:71]
	v_add_f64 v[64:65], v[84:85], v[68:69]
	s_delay_alu instid0(VALU_DEP_4) | instskip(SKIP_1) | instid1(VALU_DEP_1)
	v_fma_f64 v[60:61], v[60:61], -0.5, v[58:59]
	v_add_f64 v[58:59], v[58:59], v[78:79]
	v_add_f64 v[58:59], v[58:59], v[74:75]
	s_waitcnt vmcnt(8)
	v_mul_f64 v[50:51], v[5:6], v[54:55]
	v_mul_f64 v[54:55], v[3:4], v[54:55]
	s_delay_alu instid0(VALU_DEP_2) | instskip(NEXT) | instid1(VALU_DEP_2)
	v_fma_f64 v[50:51], v[3:4], v[52:53], -v[50:51]
	v_fma_f64 v[52:53], v[5:6], v[52:53], v[54:55]
	v_add_f64 v[54:55], v[76:77], v[72:73]
	ds_load_b128 v[2:5], v2
	v_add_f64 v[76:77], v[56:57], v[76:77]
	s_waitcnt lgkmcnt(0)
	v_add_f64 v[90:91], v[4:5], v[82:83]
	v_fma_f64 v[4:5], v[62:63], -0.5, v[4:5]
	v_fma_f64 v[62:63], v[64:65], -0.5, v[2:3]
	s_waitcnt vmcnt(5)
	v_mul_f64 v[64:65], v[9:10], v[13:14]
	v_mul_f64 v[13:14], v[7:8], v[13:14]
	v_add_f64 v[2:3], v[2:3], v[84:85]
	v_fma_f64 v[54:55], v[54:55], -0.5, v[56:57]
	v_fma_f64 v[56:57], v[66:67], s[0:1], v[60:61]
	v_fma_f64 v[60:61], v[66:67], s[8:9], v[60:61]
	v_add_f64 v[66:67], v[78:79], -v[74:75]
	v_add_f64 v[78:79], v[84:85], -v[68:69]
	v_add_f64 v[72:73], v[76:77], v[72:73]
	v_fma_f64 v[6:7], v[7:8], v[11:12], -v[64:65]
	v_add_f64 v[64:65], v[82:83], -v[70:71]
	v_fma_f64 v[8:9], v[9:10], v[11:12], v[13:14]
	v_add_f64 v[70:71], v[90:91], v[70:71]
	v_add_f64 v[2:3], v[2:3], v[68:69]
	s_waitcnt vmcnt(4)
	v_mul_f64 v[90:91], v[42:43], v[17:18]
	v_mul_u32_u24_e32 v14, 0x187, v0
	v_mul_f64 v[17:18], v[44:45], v[17:18]
	s_delay_alu instid0(VALU_DEP_2)
	v_lshrrev_b32_e32 v14, 17, v14
	s_waitcnt vmcnt(3)
	v_mul_f64 v[82:83], v[86:87], v[21:22]
	s_waitcnt vmcnt(2)
	v_mul_f64 v[84:85], v[80:81], v[25:26]
	v_mul_f64 v[21:22], v[88:89], v[21:22]
	;; [unrolled: 1-line block ×3, first 2 shown]
	v_mul_f64 v[12:13], v[60:61], 0.5
	v_fma_f64 v[10:11], v[66:67], s[0:1], v[54:55]
	v_mul_f64 v[60:61], v[60:61], s[0:1]
	v_fma_f64 v[54:55], v[66:67], s[8:9], v[54:55]
	v_mul_f64 v[66:67], v[56:57], s[0:1]
	v_mul_f64 v[56:57], v[56:57], -0.5
	s_waitcnt vmcnt(0)
	v_mul_f64 v[74:75], v[46:47], v[29:30]
	v_mul_f64 v[68:69], v[50:51], v[34:35]
	v_fma_f64 v[76:77], v[78:79], s[0:1], v[4:5]
	v_fma_f64 v[4:5], v[78:79], s[8:9], v[4:5]
	v_mul_f64 v[29:30], v[48:49], v[29:30]
	v_mul_f64 v[34:35], v[52:53], v[34:35]
	v_fma_f64 v[78:79], v[64:65], s[8:9], v[62:63]
	v_fma_f64 v[62:63], v[64:65], s[0:1], v[62:63]
	v_mul_f64 v[64:65], v[6:7], v[38:39]
	v_mul_f64 v[38:39], v[8:9], v[38:39]
	v_fma_f64 v[44:45], v[15:16], v[44:45], v[90:91]
	s_lshl_b64 s[0:1], s[10:11], 4
	s_delay_alu instid0(SALU_CYCLE_1)
	s_add_u32 s0, s2, s0
	s_addc_u32 s1, s3, s1
	v_fma_f64 v[40:41], v[23:24], v[40:41], v[84:85]
	v_fma_f64 v[24:25], v[23:24], v[80:81], -v[25:26]
	v_fma_f64 v[12:13], v[10:11], s[8:9], v[12:13]
	v_fma_f64 v[10:11], v[10:11], 0.5, v[60:61]
	v_mad_u64_u32 v[60:61], null, s6, v31, 0
	v_fma_f64 v[66:67], v[54:55], -0.5, v[66:67]
	v_fma_f64 v[54:55], v[54:55], s[8:9], v[56:57]
	v_fma_f64 v[48:49], v[27:28], v[48:49], v[74:75]
	;; [unrolled: 1-line block ×3, first 2 shown]
	v_add_f64 v[68:69], v[2:3], -v[72:73]
	v_mov_b32_e32 v0, v61
	s_delay_alu instid0(VALU_DEP_1) | instskip(SKIP_1) | instid1(VALU_DEP_1)
	v_mad_u64_u32 v[56:57], null, s7, v31, v[0:1]
	v_mul_lo_u16 v0, 0x54, v14
	v_dual_mov_b32 v61, v56 :: v_dual_and_b32 v0, 0xffff, v0
	v_fma_f64 v[56:57], v[19:20], v[88:89], v[82:83]
	v_fma_f64 v[8:9], v[36:37], v[8:9], v[64:65]
	v_add_f64 v[64:65], v[70:71], -v[58:59]
	v_add_f64 v[58:59], v[70:71], v[58:59]
	v_add_f64 v[70:71], v[2:3], v[72:73]
	v_add_nc_u32_e32 v88, v1, v0
	v_lshlrev_b64 v[0:1], 4, v[60:61]
	s_delay_alu instid0(VALU_DEP_2)
	v_add_nc_u32_e32 v89, 14, v88
	v_mad_u64_u32 v[2:3], null, s4, v88, 0
	v_add_nc_u32_e32 v90, 28, v88
	v_add_f64 v[84:85], v[4:5], -v[12:13]
	v_add_f64 v[74:75], v[62:63], -v[10:11]
	v_add_f64 v[62:63], v[62:63], v[10:11]
	v_add_nc_u32_e32 v91, 42, v88
	v_add_f64 v[72:73], v[78:79], -v[66:67]
	v_add_f64 v[66:67], v[78:79], v[66:67]
	v_add_f64 v[78:79], v[4:5], v[12:13]
	;; [unrolled: 1-line block ×3, first 2 shown]
	v_add_f64 v[10:11], v[76:77], -v[54:55]
	v_fma_f64 v[4:5], v[19:20], v[86:87], -v[21:22]
	v_fma_f64 v[20:21], v[15:16], v[42:43], -v[17:18]
	;; [unrolled: 1-line block ×4, first 2 shown]
	v_mul_f64 v[6:7], v[68:69], v[48:49]
	v_fma_f64 v[22:23], v[32:33], v[50:51], -v[34:35]
	v_mad_u64_u32 v[54:55], null, s4, v89, 0
	v_add_nc_u32_e32 v92, 56, v88
	v_add_nc_u32_e32 v93, 0x46, v88
	v_mad_u64_u32 v[60:61], null, s4, v90, 0
	v_add_co_u32 v50, vcc_lo, s0, v0
	v_mad_u64_u32 v[76:77], null, s4, v91, 0
	v_mad_u64_u32 v[80:81], null, s4, v92, 0
	v_mul_f64 v[26:27], v[58:59], v[56:57]
	v_mul_f64 v[18:19], v[70:71], v[56:57]
	;; [unrolled: 1-line block ×3, first 2 shown]
	v_add_co_ci_u32_e32 v51, vcc_lo, s1, v1, vcc_lo
	v_mad_u64_u32 v[86:87], null, s4, v93, 0
	v_mov_b32_e32 v42, v77
	v_mov_b32_e32 v43, v81
	v_mul_f64 v[38:39], v[84:85], v[44:45]
	v_mul_f64 v[36:37], v[74:75], v[44:45]
	;; [unrolled: 1-line block ×3, first 2 shown]
	v_mov_b32_e32 v44, v87
	v_mul_f64 v[28:29], v[72:73], v[40:41]
	v_mul_f64 v[30:31], v[66:67], v[52:53]
	v_mul_f64 v[8:9], v[78:79], v[8:9]
	v_mul_f64 v[34:35], v[82:83], v[52:53]
	v_mul_f64 v[40:41], v[10:11], v[40:41]
	v_mad_u64_u32 v[0:1], null, s5, v88, v[3:4]
	v_mov_b32_e32 v1, v55
	v_mov_b32_e32 v3, v61
	s_delay_alu instid0(VALU_DEP_2) | instskip(NEXT) | instid1(VALU_DEP_2)
	v_mad_u64_u32 v[45:46], null, s5, v89, v[1:2]
	v_mad_u64_u32 v[46:47], null, s5, v90, v[3:4]
	v_mov_b32_e32 v3, v0
	v_mad_u64_u32 v[47:48], null, s5, v91, v[42:43]
	v_mad_u64_u32 v[48:49], null, s5, v92, v[43:44]
	;; [unrolled: 1-line block ×3, first 2 shown]
	s_delay_alu instid0(VALU_DEP_4)
	v_lshlrev_b64 v[43:44], 4, v[2:3]
	v_fma_f64 v[2:3], v[64:65], v[12:13], -v[6:7]
	v_fma_f64 v[6:7], v[58:59], v[4:5], -v[18:19]
	v_fma_f64 v[4:5], v[70:71], v[4:5], v[26:27]
	v_fma_f64 v[0:1], v[68:69], v[12:13], v[14:15]
	v_mov_b32_e32 v55, v45
	v_mov_b32_e32 v87, v42
	;; [unrolled: 1-line block ×5, first 2 shown]
	s_delay_alu instid0(VALU_DEP_3)
	v_lshlrev_b64 v[26:27], 4, v[60:61]
	v_fma_f64 v[18:19], v[78:79], v[16:17], -v[32:33]
	v_lshlrev_b64 v[32:33], 4, v[86:87]
	v_fma_f64 v[10:11], v[10:11], v[24:25], -v[28:29]
	v_fma_f64 v[14:15], v[82:83], v[22:23], -v[30:31]
	v_fma_f64 v[16:17], v[62:63], v[16:17], v[8:9]
	v_fma_f64 v[12:13], v[66:67], v[22:23], v[34:35]
	v_fma_f64 v[22:23], v[84:85], v[20:21], -v[36:37]
	v_fma_f64 v[20:21], v[74:75], v[20:21], v[38:39]
	v_fma_f64 v[8:9], v[72:73], v[24:25], v[40:41]
	v_lshlrev_b64 v[24:25], 4, v[54:55]
	v_add_co_u32 v34, vcc_lo, v50, v43
	v_add_co_ci_u32_e32 v35, vcc_lo, v51, v44, vcc_lo
	v_lshlrev_b64 v[28:29], 4, v[76:77]
	s_delay_alu instid0(VALU_DEP_4)
	v_add_co_u32 v24, vcc_lo, v50, v24
	v_add_co_ci_u32_e32 v25, vcc_lo, v51, v25, vcc_lo
	v_lshlrev_b64 v[30:31], 4, v[80:81]
	v_add_co_u32 v26, vcc_lo, v50, v26
	v_add_co_ci_u32_e32 v27, vcc_lo, v51, v27, vcc_lo
	v_add_co_u32 v28, vcc_lo, v50, v28
	v_add_co_ci_u32_e32 v29, vcc_lo, v51, v29, vcc_lo
	;; [unrolled: 2-line block ×4, first 2 shown]
	s_clause 0x5
	global_store_b128 v[34:35], v[4:7], off
	global_store_b128 v[24:25], v[16:19], off
	;; [unrolled: 1-line block ×6, first 2 shown]
.LBB0_20:
	s_nop 0
	s_sendmsg sendmsg(MSG_DEALLOC_VGPRS)
	s_endpgm
	.section	.rodata,"a",@progbits
	.p2align	6, 0x0
	.amdhsa_kernel fft_rtc_back_len84_factors_7_2_6_wgs_336_tpt_14_dp_ip_CI_sbcc_twdbase8_3step_dirReg
		.amdhsa_group_segment_fixed_size 0
		.amdhsa_private_segment_fixed_size 0
		.amdhsa_kernarg_size 96
		.amdhsa_user_sgpr_count 15
		.amdhsa_user_sgpr_dispatch_ptr 0
		.amdhsa_user_sgpr_queue_ptr 0
		.amdhsa_user_sgpr_kernarg_segment_ptr 1
		.amdhsa_user_sgpr_dispatch_id 0
		.amdhsa_user_sgpr_private_segment_size 0
		.amdhsa_wavefront_size32 1
		.amdhsa_uses_dynamic_stack 0
		.amdhsa_enable_private_segment 0
		.amdhsa_system_sgpr_workgroup_id_x 1
		.amdhsa_system_sgpr_workgroup_id_y 0
		.amdhsa_system_sgpr_workgroup_id_z 0
		.amdhsa_system_sgpr_workgroup_info 0
		.amdhsa_system_vgpr_workitem_id 0
		.amdhsa_next_free_vgpr 94
		.amdhsa_next_free_sgpr 46
		.amdhsa_reserve_vcc 1
		.amdhsa_float_round_mode_32 0
		.amdhsa_float_round_mode_16_64 0
		.amdhsa_float_denorm_mode_32 3
		.amdhsa_float_denorm_mode_16_64 3
		.amdhsa_dx10_clamp 1
		.amdhsa_ieee_mode 1
		.amdhsa_fp16_overflow 0
		.amdhsa_workgroup_processor_mode 1
		.amdhsa_memory_ordered 1
		.amdhsa_forward_progress 0
		.amdhsa_shared_vgpr_count 0
		.amdhsa_exception_fp_ieee_invalid_op 0
		.amdhsa_exception_fp_denorm_src 0
		.amdhsa_exception_fp_ieee_div_zero 0
		.amdhsa_exception_fp_ieee_overflow 0
		.amdhsa_exception_fp_ieee_underflow 0
		.amdhsa_exception_fp_ieee_inexact 0
		.amdhsa_exception_int_div_zero 0
	.end_amdhsa_kernel
	.text
.Lfunc_end0:
	.size	fft_rtc_back_len84_factors_7_2_6_wgs_336_tpt_14_dp_ip_CI_sbcc_twdbase8_3step_dirReg, .Lfunc_end0-fft_rtc_back_len84_factors_7_2_6_wgs_336_tpt_14_dp_ip_CI_sbcc_twdbase8_3step_dirReg
                                        ; -- End function
	.section	.AMDGPU.csdata,"",@progbits
; Kernel info:
; codeLenInByte = 6792
; NumSgprs: 48
; NumVgprs: 94
; ScratchSize: 0
; MemoryBound: 1
; FloatMode: 240
; IeeeMode: 1
; LDSByteSize: 0 bytes/workgroup (compile time only)
; SGPRBlocks: 5
; VGPRBlocks: 11
; NumSGPRsForWavesPerEU: 48
; NumVGPRsForWavesPerEU: 94
; Occupancy: 14
; WaveLimiterHint : 1
; COMPUTE_PGM_RSRC2:SCRATCH_EN: 0
; COMPUTE_PGM_RSRC2:USER_SGPR: 15
; COMPUTE_PGM_RSRC2:TRAP_HANDLER: 0
; COMPUTE_PGM_RSRC2:TGID_X_EN: 1
; COMPUTE_PGM_RSRC2:TGID_Y_EN: 0
; COMPUTE_PGM_RSRC2:TGID_Z_EN: 0
; COMPUTE_PGM_RSRC2:TIDIG_COMP_CNT: 0
	.text
	.p2alignl 7, 3214868480
	.fill 96, 4, 3214868480
	.type	__hip_cuid_48a4f062d3863058,@object ; @__hip_cuid_48a4f062d3863058
	.section	.bss,"aw",@nobits
	.globl	__hip_cuid_48a4f062d3863058
__hip_cuid_48a4f062d3863058:
	.byte	0                               ; 0x0
	.size	__hip_cuid_48a4f062d3863058, 1

	.ident	"AMD clang version 19.0.0git (https://github.com/RadeonOpenCompute/llvm-project roc-6.4.0 25133 c7fe45cf4b819c5991fe208aaa96edf142730f1d)"
	.section	".note.GNU-stack","",@progbits
	.addrsig
	.addrsig_sym __hip_cuid_48a4f062d3863058
	.amdgpu_metadata
---
amdhsa.kernels:
  - .args:
      - .actual_access:  read_only
        .address_space:  global
        .offset:         0
        .size:           8
        .value_kind:     global_buffer
      - .address_space:  global
        .offset:         8
        .size:           8
        .value_kind:     global_buffer
      - .offset:         16
        .size:           8
        .value_kind:     by_value
      - .actual_access:  read_only
        .address_space:  global
        .offset:         24
        .size:           8
        .value_kind:     global_buffer
      - .actual_access:  read_only
        .address_space:  global
        .offset:         32
        .size:           8
        .value_kind:     global_buffer
      - .offset:         40
        .size:           8
        .value_kind:     by_value
      - .actual_access:  read_only
        .address_space:  global
        .offset:         48
        .size:           8
        .value_kind:     global_buffer
      - .actual_access:  read_only
        .address_space:  global
        .offset:         56
        .size:           8
        .value_kind:     global_buffer
      - .offset:         64
        .size:           4
        .value_kind:     by_value
      - .actual_access:  read_only
        .address_space:  global
        .offset:         72
        .size:           8
        .value_kind:     global_buffer
      - .actual_access:  read_only
        .address_space:  global
        .offset:         80
        .size:           8
        .value_kind:     global_buffer
      - .address_space:  global
        .offset:         88
        .size:           8
        .value_kind:     global_buffer
    .group_segment_fixed_size: 0
    .kernarg_segment_align: 8
    .kernarg_segment_size: 96
    .language:       OpenCL C
    .language_version:
      - 2
      - 0
    .max_flat_workgroup_size: 336
    .name:           fft_rtc_back_len84_factors_7_2_6_wgs_336_tpt_14_dp_ip_CI_sbcc_twdbase8_3step_dirReg
    .private_segment_fixed_size: 0
    .sgpr_count:     48
    .sgpr_spill_count: 0
    .symbol:         fft_rtc_back_len84_factors_7_2_6_wgs_336_tpt_14_dp_ip_CI_sbcc_twdbase8_3step_dirReg.kd
    .uniform_work_group_size: 1
    .uses_dynamic_stack: false
    .vgpr_count:     94
    .vgpr_spill_count: 0
    .wavefront_size: 32
    .workgroup_processor_mode: 1
amdhsa.target:   amdgcn-amd-amdhsa--gfx1100
amdhsa.version:
  - 1
  - 2
...

	.end_amdgpu_metadata
